;; amdgpu-corpus repo=zjin-lcf/HeCBench kind=compiled arch=gfx1250 opt=O3
	.amdgcn_target "amdgcn-amd-amdhsa--gfx1250"
	.amdhsa_code_object_version 6
	.section	.text._Z10vhgw_horizIL11MorphOpType0EEvPhPKhiii,"axG",@progbits,_Z10vhgw_horizIL11MorphOpType0EEvPhPKhiii,comdat
	.protected	_Z10vhgw_horizIL11MorphOpType0EEvPhPKhiii ; -- Begin function _Z10vhgw_horizIL11MorphOpType0EEvPhPKhiii
	.globl	_Z10vhgw_horizIL11MorphOpType0EEvPhPKhiii
	.p2align	8
	.type	_Z10vhgw_horizIL11MorphOpType0EEvPhPKhiii,@function
_Z10vhgw_horizIL11MorphOpType0EEvPhPKhiii: ; @_Z10vhgw_horizIL11MorphOpType0EEvPhPKhiii
; %bb.0:
	s_clause 0x1
	s_load_b32 s2, s[0:1], 0x2c
	s_load_b96 s[4:6], s[0:1], 0x10
	s_bfe_u32 s7, ttmp6, 0x4000c
	s_bfe_u32 s8, ttmp6, 0x40010
	s_add_co_i32 s7, s7, 1
	s_add_co_i32 s8, s8, 1
	s_and_b32 s3, ttmp6, 15
	s_bfe_u32 s9, ttmp6, 0x40004
	s_mul_i32 s7, ttmp9, s7
	s_mul_i32 s8, ttmp7, s8
	s_getreg_b32 s10, hwreg(HW_REG_IB_STS2, 6, 4)
	v_and_b32_e32 v2, 0x3ff, v0
	v_bfe_u32 v0, v0, 10, 10
	s_add_co_i32 s3, s3, s7
	s_add_co_i32 s9, s9, s8
	s_wait_kmcnt 0x0
	s_lshr_b32 s7, s2, 16
	s_and_b32 s2, s2, 0xffff
	s_cmp_eq_u32 s10, 0
	s_cselect_b32 s3, ttmp9, s3
	s_cselect_b32 s8, ttmp7, s9
	v_mad_u32 v3, s3, s2, v2
	v_mad_u32 v0, s8, s7, v0
	s_delay_alu instid0(VALU_DEP_2) | instskip(NEXT) | instid1(VALU_DEP_2)
	v_cmp_gt_i32_e32 vcc_lo, s4, v3
	v_cmp_gt_i32_e64 s2, s5, v0
	s_and_b32 s2, vcc_lo, s2
	s_delay_alu instid0(SALU_CYCLE_1)
	s_and_saveexec_b32 s3, s2
	s_cbranch_execz .LBB0_12
; %bb.1:
	s_load_b64 s[2:3], s[0:1], 0x8
	v_mad_u32 v0, v0, s4, v3
	v_dual_add_nc_u32 v4, s6, v3 :: v_dual_add_nc_u32 v5, 0, v2
	s_delay_alu instid0(VALU_DEP_1) | instskip(NEXT) | instid1(VALU_DEP_2)
	v_cmp_gt_i32_e32 vcc_lo, s4, v4
	v_add_nc_u32_e32 v4, s6, v5
	s_wait_kmcnt 0x0
	global_load_u8 v1, v0, s[2:3]
	s_wait_loadcnt 0x0
	ds_store_b8 v5, v1
	s_and_saveexec_b32 s5, vcc_lo
	s_cbranch_execz .LBB0_3
; %bb.2:
	v_ashrrev_i32_e32 v1, 31, v0
	s_delay_alu instid0(VALU_DEP_1)
	v_add_nc_u64_e32 v[6:7], s[2:3], v[0:1]
	s_ashr_i32 s3, s6, 31
	s_mov_b32 s2, s6
	s_delay_alu instid0(VALU_DEP_1) | instid1(SALU_CYCLE_1)
	v_add_nc_u64_e32 v[6:7], s[2:3], v[6:7]
	global_load_u8 v1, v[6:7], off
	s_wait_loadcnt 0x0
	ds_store_b8 v4, v1
.LBB0_3:
	s_or_b32 exec_lo, exec_lo, s5
	s_wait_dscnt 0x0
	s_barrier_signal -1
	s_barrier_wait -1
	ds_load_u8 v6, v5
	ds_load_u8 v7, v4
	s_lshl_b32 s2, s6, 1
	s_mov_b32 s3, 1
	s_add_co_i32 s2, s2, 0
	s_delay_alu instid0(SALU_CYCLE_1) | instskip(SKIP_1) | instid1(VALU_DEP_1)
	v_dual_add_nc_u32 v5, s6, v2 :: v_dual_add_nc_u32 v1, s2, v2
	s_cmp_lt_i32 s6, 2
	v_add_nc_u32_e32 v4, s2, v5
	s_wait_dscnt 0x1
	ds_store_b8 v1, v6
	s_wait_dscnt 0x1
	ds_store_b8 v4, v7
	s_wait_dscnt 0x0
	s_barrier_signal -1
	s_barrier_wait -1
	s_cbranch_scc1 .LBB0_10
; %bb.4:
	v_add_nc_u32_e32 v5, -1, v5
	s_delay_alu instid0(VALU_DEP_1)
	v_add_nc_u32_e32 v6, s2, v5
	s_branch .LBB0_6
.LBB0_5:                                ;   in Loop: Header=BB0_6 Depth=1
	s_or_b32 exec_lo, exec_lo, s5
	s_lshl_b32 s3, s3, 1
	s_wait_dscnt 0x0
	s_cmp_lt_i32 s3, s6
	s_barrier_signal -1
	s_barrier_wait -1
	s_cbranch_scc0 .LBB0_10
.LBB0_6:                                ; =>This Inner Loop Header: Depth=1
	s_mov_b32 s5, exec_lo
	v_cmpx_le_u32_e64 s3, v2
	s_cbranch_execz .LBB0_8
; %bb.7:                                ;   in Loop: Header=BB0_6 Depth=1
	v_subrev_nc_u32_e32 v7, s3, v5
	s_delay_alu instid0(VALU_DEP_1)
	v_add_nc_u32_e32 v7, s2, v7
	ds_load_u8 v8, v6
	ds_load_u8 v7, v7
	s_wait_dscnt 0x0
	v_min_u16 v7, v8, v7
	ds_store_b8 v6, v7
.LBB0_8:                                ;   in Loop: Header=BB0_6 Depth=1
	s_or_b32 exec_lo, exec_lo, s5
	s_not_b32 s5, s3
	s_delay_alu instid0(SALU_CYCLE_1) | instskip(NEXT) | instid1(SALU_CYCLE_1)
	s_add_co_i32 s5, s6, s5
	v_cmp_ge_i32_e32 vcc_lo, s5, v2
	s_and_saveexec_b32 s5, vcc_lo
	s_cbranch_execz .LBB0_5
; %bb.9:                                ;   in Loop: Header=BB0_6 Depth=1
	v_add_nc_u32_e32 v7, s3, v1
	ds_load_u8 v8, v1
	ds_load_u8 v7, v7
	s_wait_dscnt 0x0
	v_min_u16 v7, v8, v7
	ds_store_b8 v1, v7
	s_branch .LBB0_5
.LBB0_10:
	s_lshr_b32 s2, s6, 31
	s_delay_alu instid0(SALU_CYCLE_1) | instskip(NEXT) | instid1(SALU_CYCLE_1)
	s_add_co_i32 s2, s6, s2
	s_ashr_i32 s2, s2, 1
	s_delay_alu instid0(SALU_CYCLE_1)
	v_add_nc_u32_e32 v2, s2, v3
	s_sub_co_i32 s3, s4, s2
	s_delay_alu instid0(VALU_DEP_1) | instid1(SALU_CYCLE_1)
	v_cmp_gt_i32_e32 vcc_lo, s3, v2
	s_and_b32 exec_lo, exec_lo, vcc_lo
	s_cbranch_execz .LBB0_12
; %bb.11:
	v_add_nc_u32_e32 v2, -1, v4
	s_load_b64 s[0:1], s[0:1], 0x0
	v_add_nc_u32_e32 v0, s2, v0
	ds_load_u8 v1, v1
	ds_load_u8 v2, v2
	s_wait_dscnt 0x0
	v_min_u16 v1, v1, v2
	s_wait_kmcnt 0x0
	global_store_b8 v0, v1, s[0:1]
.LBB0_12:
	s_endpgm
	.section	.rodata,"a",@progbits
	.p2align	6, 0x0
	.amdhsa_kernel _Z10vhgw_horizIL11MorphOpType0EEvPhPKhiii
		.amdhsa_group_segment_fixed_size 0
		.amdhsa_private_segment_fixed_size 0
		.amdhsa_kernarg_size 288
		.amdhsa_user_sgpr_count 2
		.amdhsa_user_sgpr_dispatch_ptr 0
		.amdhsa_user_sgpr_queue_ptr 0
		.amdhsa_user_sgpr_kernarg_segment_ptr 1
		.amdhsa_user_sgpr_dispatch_id 0
		.amdhsa_user_sgpr_kernarg_preload_length 0
		.amdhsa_user_sgpr_kernarg_preload_offset 0
		.amdhsa_user_sgpr_private_segment_size 0
		.amdhsa_wavefront_size32 1
		.amdhsa_uses_dynamic_stack 0
		.amdhsa_enable_private_segment 0
		.amdhsa_system_sgpr_workgroup_id_x 1
		.amdhsa_system_sgpr_workgroup_id_y 1
		.amdhsa_system_sgpr_workgroup_id_z 0
		.amdhsa_system_sgpr_workgroup_info 0
		.amdhsa_system_vgpr_workitem_id 1
		.amdhsa_next_free_vgpr 9
		.amdhsa_next_free_sgpr 11
		.amdhsa_named_barrier_count 0
		.amdhsa_reserve_vcc 1
		.amdhsa_float_round_mode_32 0
		.amdhsa_float_round_mode_16_64 0
		.amdhsa_float_denorm_mode_32 3
		.amdhsa_float_denorm_mode_16_64 3
		.amdhsa_fp16_overflow 0
		.amdhsa_memory_ordered 1
		.amdhsa_forward_progress 1
		.amdhsa_inst_pref_size 6
		.amdhsa_round_robin_scheduling 0
		.amdhsa_exception_fp_ieee_invalid_op 0
		.amdhsa_exception_fp_denorm_src 0
		.amdhsa_exception_fp_ieee_div_zero 0
		.amdhsa_exception_fp_ieee_overflow 0
		.amdhsa_exception_fp_ieee_underflow 0
		.amdhsa_exception_fp_ieee_inexact 0
		.amdhsa_exception_int_div_zero 0
	.end_amdhsa_kernel
	.section	.text._Z10vhgw_horizIL11MorphOpType0EEvPhPKhiii,"axG",@progbits,_Z10vhgw_horizIL11MorphOpType0EEvPhPKhiii,comdat
.Lfunc_end0:
	.size	_Z10vhgw_horizIL11MorphOpType0EEvPhPKhiii, .Lfunc_end0-_Z10vhgw_horizIL11MorphOpType0EEvPhPKhiii
                                        ; -- End function
	.set _Z10vhgw_horizIL11MorphOpType0EEvPhPKhiii.num_vgpr, 9
	.set _Z10vhgw_horizIL11MorphOpType0EEvPhPKhiii.num_agpr, 0
	.set _Z10vhgw_horizIL11MorphOpType0EEvPhPKhiii.numbered_sgpr, 11
	.set _Z10vhgw_horizIL11MorphOpType0EEvPhPKhiii.num_named_barrier, 0
	.set _Z10vhgw_horizIL11MorphOpType0EEvPhPKhiii.private_seg_size, 0
	.set _Z10vhgw_horizIL11MorphOpType0EEvPhPKhiii.uses_vcc, 1
	.set _Z10vhgw_horizIL11MorphOpType0EEvPhPKhiii.uses_flat_scratch, 0
	.set _Z10vhgw_horizIL11MorphOpType0EEvPhPKhiii.has_dyn_sized_stack, 0
	.set _Z10vhgw_horizIL11MorphOpType0EEvPhPKhiii.has_recursion, 0
	.set _Z10vhgw_horizIL11MorphOpType0EEvPhPKhiii.has_indirect_call, 0
	.section	.AMDGPU.csdata,"",@progbits
; Kernel info:
; codeLenInByte = 692
; TotalNumSgprs: 13
; NumVgprs: 9
; ScratchSize: 0
; MemoryBound: 0
; FloatMode: 240
; IeeeMode: 1
; LDSByteSize: 0 bytes/workgroup (compile time only)
; SGPRBlocks: 0
; VGPRBlocks: 0
; NumSGPRsForWavesPerEU: 13
; NumVGPRsForWavesPerEU: 9
; NamedBarCnt: 0
; Occupancy: 16
; WaveLimiterHint : 0
; COMPUTE_PGM_RSRC2:SCRATCH_EN: 0
; COMPUTE_PGM_RSRC2:USER_SGPR: 2
; COMPUTE_PGM_RSRC2:TRAP_HANDLER: 0
; COMPUTE_PGM_RSRC2:TGID_X_EN: 1
; COMPUTE_PGM_RSRC2:TGID_Y_EN: 1
; COMPUTE_PGM_RSRC2:TGID_Z_EN: 0
; COMPUTE_PGM_RSRC2:TIDIG_COMP_CNT: 1
	.section	.text._Z9vhgw_vertIL11MorphOpType0EEvPhPKhiii,"axG",@progbits,_Z9vhgw_vertIL11MorphOpType0EEvPhPKhiii,comdat
	.protected	_Z9vhgw_vertIL11MorphOpType0EEvPhPKhiii ; -- Begin function _Z9vhgw_vertIL11MorphOpType0EEvPhPKhiii
	.globl	_Z9vhgw_vertIL11MorphOpType0EEvPhPKhiii
	.p2align	8
	.type	_Z9vhgw_vertIL11MorphOpType0EEvPhPKhiii,@function
_Z9vhgw_vertIL11MorphOpType0EEvPhPKhiii: ; @_Z9vhgw_vertIL11MorphOpType0EEvPhPKhiii
; %bb.0:
	s_clause 0x1
	s_load_b32 s2, s[0:1], 0x2c
	s_load_b96 s[4:6], s[0:1], 0x10
	s_bfe_u32 s7, ttmp6, 0x4000c
	s_bfe_u32 s8, ttmp6, 0x40010
	s_add_co_i32 s7, s7, 1
	s_add_co_i32 s8, s8, 1
	s_and_b32 s3, ttmp6, 15
	s_bfe_u32 s9, ttmp6, 0x40004
	s_mul_i32 s7, ttmp9, s7
	s_mul_i32 s8, ttmp7, s8
	s_getreg_b32 s10, hwreg(HW_REG_IB_STS2, 6, 4)
	v_and_b32_e32 v2, 0x3ff, v0
	v_bfe_u32 v3, v0, 10, 10
	s_add_co_i32 s3, s3, s7
	s_add_co_i32 s9, s9, s8
	s_wait_kmcnt 0x0
	s_lshr_b32 s7, s2, 16
	s_and_b32 s2, s2, 0xffff
	s_cmp_eq_u32 s10, 0
	s_cselect_b32 s8, ttmp7, s9
	s_cselect_b32 s3, ttmp9, s3
	v_mad_u32 v1, s8, s7, v3
	v_mad_u32 v2, s3, s2, v2
	s_delay_alu instid0(VALU_DEP_2) | instskip(NEXT) | instid1(VALU_DEP_2)
	v_cmp_gt_i32_e32 vcc_lo, s5, v1
	v_cmp_gt_i32_e64 s2, s4, v2
	s_and_b32 s2, s2, vcc_lo
	s_delay_alu instid0(SALU_CYCLE_1)
	s_and_saveexec_b32 s3, s2
	s_cbranch_execz .LBB1_14
; %bb.1:
	s_load_b64 s[2:3], s[0:1], 0x8
	v_mad_u32 v0, v1, s4, v2
	v_dual_add_nc_u32 v6, s6, v1 :: v_dual_add_nc_u32 v5, 0, v3
	s_mov_b32 s7, exec_lo
	s_delay_alu instid0(VALU_DEP_1)
	v_add_nc_u32_e32 v4, s6, v5
	s_wait_kmcnt 0x0
	global_load_u8 v7, v0, s[2:3]
	s_wait_loadcnt 0x0
	ds_store_b8 v5, v7
	v_cmpx_gt_i32_e64 s5, v6
	s_cbranch_execz .LBB1_3
; %bb.2:
	v_mad_u32 v6, v6, s4, v2
	global_load_u8 v6, v6, s[2:3]
	s_wait_loadcnt 0x0
	ds_store_b8 v4, v6
.LBB1_3:
	s_or_b32 exec_lo, exec_lo, s7
	s_wait_dscnt 0x0
	s_barrier_signal -1
	s_barrier_wait -1
	ds_load_u8 v7, v5
	ds_load_u8 v8, v4
	s_lshl_b32 s2, s6, 1
	s_mov_b32 s3, 1
	s_add_co_i32 s2, s2, 0
	s_delay_alu instid0(SALU_CYCLE_1) | instskip(SKIP_1) | instid1(VALU_DEP_1)
	v_dual_add_nc_u32 v6, s6, v3 :: v_dual_add_nc_u32 v4, s2, v3
	s_cmp_lt_i32 s6, 2
	v_add_nc_u32_e32 v5, s2, v6
	s_wait_dscnt 0x1
	ds_store_b8 v4, v7
	s_wait_dscnt 0x1
	ds_store_b8 v5, v8
	s_wait_dscnt 0x0
	s_barrier_signal -1
	s_barrier_wait -1
	s_cbranch_scc1 .LBB1_10
; %bb.4:
	v_add_nc_u32_e32 v6, -1, v6
	s_delay_alu instid0(VALU_DEP_1)
	v_add_nc_u32_e32 v7, s2, v6
	s_branch .LBB1_6
.LBB1_5:                                ;   in Loop: Header=BB1_6 Depth=1
	s_or_b32 exec_lo, exec_lo, s7
	s_lshl_b32 s3, s3, 1
	s_wait_dscnt 0x0
	s_cmp_lt_i32 s3, s6
	s_barrier_signal -1
	s_barrier_wait -1
	s_cbranch_scc0 .LBB1_10
.LBB1_6:                                ; =>This Inner Loop Header: Depth=1
	s_mov_b32 s7, exec_lo
	v_cmpx_le_u32_e64 s3, v3
	s_cbranch_execz .LBB1_8
; %bb.7:                                ;   in Loop: Header=BB1_6 Depth=1
	v_subrev_nc_u32_e32 v8, s3, v6
	s_delay_alu instid0(VALU_DEP_1)
	v_add_nc_u32_e32 v8, s2, v8
	ds_load_u8 v9, v7
	ds_load_u8 v8, v8
	s_wait_dscnt 0x0
	v_min_u16 v8, v9, v8
	ds_store_b8 v7, v8
.LBB1_8:                                ;   in Loop: Header=BB1_6 Depth=1
	s_or_b32 exec_lo, exec_lo, s7
	s_not_b32 s7, s3
	s_delay_alu instid0(SALU_CYCLE_1) | instskip(NEXT) | instid1(SALU_CYCLE_1)
	s_add_co_i32 s7, s6, s7
	v_cmp_ge_i32_e32 vcc_lo, s7, v3
	s_and_saveexec_b32 s7, vcc_lo
	s_cbranch_execz .LBB1_5
; %bb.9:                                ;   in Loop: Header=BB1_6 Depth=1
	v_add_nc_u32_e32 v8, s3, v4
	ds_load_u8 v9, v4
	ds_load_u8 v8, v8
	s_wait_dscnt 0x0
	v_min_u16 v8, v9, v8
	ds_store_b8 v4, v8
	s_branch .LBB1_5
.LBB1_10:
	s_load_b64 s[2:3], s[0:1], 0x0
	s_wait_xcnt 0x0
	s_lshr_b32 s0, s6, 31
	s_delay_alu instid0(SALU_CYCLE_1) | instskip(NEXT) | instid1(SALU_CYCLE_1)
	s_add_co_i32 s0, s6, s0
	s_ashr_i32 s0, s0, 1
	s_delay_alu instid0(SALU_CYCLE_1) | instskip(SKIP_2) | instid1(VALU_DEP_1)
	v_add_nc_u32_e32 v3, s0, v1
	s_sub_co_i32 s1, s5, s0
	s_mov_b32 s5, exec_lo
	v_cmpx_gt_i32_e64 s1, v3
	s_cbranch_execz .LBB1_12
; %bb.11:
	v_add_nc_u32_e32 v5, -1, v5
	v_mad_u32 v2, v3, s4, v2
	ds_load_u8 v4, v4
	ds_load_u8 v5, v5
	s_wait_dscnt 0x0
	v_min_u16 v3, v4, v5
	s_wait_kmcnt 0x0
	global_store_b8 v2, v3, s[2:3]
.LBB1_12:
	s_wait_xcnt 0x0
	s_or_b32 exec_lo, exec_lo, s5
	v_cmp_gt_i32_e32 vcc_lo, s0, v1
	v_cmp_le_i32_e64 s0, s1, v1
	s_or_b32 s0, vcc_lo, s0
	s_delay_alu instid0(SALU_CYCLE_1)
	s_and_b32 exec_lo, exec_lo, s0
	s_cbranch_execz .LBB1_14
; %bb.13:
	v_dual_mov_b32 v2, 0 :: v_dual_ashrrev_i32 v1, 31, v0
	s_wait_kmcnt 0x0
	s_delay_alu instid0(VALU_DEP_1)
	v_add_nc_u64_e32 v[0:1], s[2:3], v[0:1]
	global_store_b8 v[0:1], v2, off
.LBB1_14:
	s_endpgm
	.section	.rodata,"a",@progbits
	.p2align	6, 0x0
	.amdhsa_kernel _Z9vhgw_vertIL11MorphOpType0EEvPhPKhiii
		.amdhsa_group_segment_fixed_size 0
		.amdhsa_private_segment_fixed_size 0
		.amdhsa_kernarg_size 288
		.amdhsa_user_sgpr_count 2
		.amdhsa_user_sgpr_dispatch_ptr 0
		.amdhsa_user_sgpr_queue_ptr 0
		.amdhsa_user_sgpr_kernarg_segment_ptr 1
		.amdhsa_user_sgpr_dispatch_id 0
		.amdhsa_user_sgpr_kernarg_preload_length 0
		.amdhsa_user_sgpr_kernarg_preload_offset 0
		.amdhsa_user_sgpr_private_segment_size 0
		.amdhsa_wavefront_size32 1
		.amdhsa_uses_dynamic_stack 0
		.amdhsa_enable_private_segment 0
		.amdhsa_system_sgpr_workgroup_id_x 1
		.amdhsa_system_sgpr_workgroup_id_y 1
		.amdhsa_system_sgpr_workgroup_id_z 0
		.amdhsa_system_sgpr_workgroup_info 0
		.amdhsa_system_vgpr_workitem_id 1
		.amdhsa_next_free_vgpr 10
		.amdhsa_next_free_sgpr 11
		.amdhsa_named_barrier_count 0
		.amdhsa_reserve_vcc 1
		.amdhsa_float_round_mode_32 0
		.amdhsa_float_round_mode_16_64 0
		.amdhsa_float_denorm_mode_32 3
		.amdhsa_float_denorm_mode_16_64 3
		.amdhsa_fp16_overflow 0
		.amdhsa_memory_ordered 1
		.amdhsa_forward_progress 1
		.amdhsa_inst_pref_size 6
		.amdhsa_round_robin_scheduling 0
		.amdhsa_exception_fp_ieee_invalid_op 0
		.amdhsa_exception_fp_denorm_src 0
		.amdhsa_exception_fp_ieee_div_zero 0
		.amdhsa_exception_fp_ieee_overflow 0
		.amdhsa_exception_fp_ieee_underflow 0
		.amdhsa_exception_fp_ieee_inexact 0
		.amdhsa_exception_int_div_zero 0
	.end_amdhsa_kernel
	.section	.text._Z9vhgw_vertIL11MorphOpType0EEvPhPKhiii,"axG",@progbits,_Z9vhgw_vertIL11MorphOpType0EEvPhPKhiii,comdat
.Lfunc_end1:
	.size	_Z9vhgw_vertIL11MorphOpType0EEvPhPKhiii, .Lfunc_end1-_Z9vhgw_vertIL11MorphOpType0EEvPhPKhiii
                                        ; -- End function
	.set _Z9vhgw_vertIL11MorphOpType0EEvPhPKhiii.num_vgpr, 10
	.set _Z9vhgw_vertIL11MorphOpType0EEvPhPKhiii.num_agpr, 0
	.set _Z9vhgw_vertIL11MorphOpType0EEvPhPKhiii.numbered_sgpr, 11
	.set _Z9vhgw_vertIL11MorphOpType0EEvPhPKhiii.num_named_barrier, 0
	.set _Z9vhgw_vertIL11MorphOpType0EEvPhPKhiii.private_seg_size, 0
	.set _Z9vhgw_vertIL11MorphOpType0EEvPhPKhiii.uses_vcc, 1
	.set _Z9vhgw_vertIL11MorphOpType0EEvPhPKhiii.uses_flat_scratch, 0
	.set _Z9vhgw_vertIL11MorphOpType0EEvPhPKhiii.has_dyn_sized_stack, 0
	.set _Z9vhgw_vertIL11MorphOpType0EEvPhPKhiii.has_recursion, 0
	.set _Z9vhgw_vertIL11MorphOpType0EEvPhPKhiii.has_indirect_call, 0
	.section	.AMDGPU.csdata,"",@progbits
; Kernel info:
; codeLenInByte = 752
; TotalNumSgprs: 13
; NumVgprs: 10
; ScratchSize: 0
; MemoryBound: 0
; FloatMode: 240
; IeeeMode: 1
; LDSByteSize: 0 bytes/workgroup (compile time only)
; SGPRBlocks: 0
; VGPRBlocks: 0
; NumSGPRsForWavesPerEU: 13
; NumVGPRsForWavesPerEU: 10
; NamedBarCnt: 0
; Occupancy: 16
; WaveLimiterHint : 0
; COMPUTE_PGM_RSRC2:SCRATCH_EN: 0
; COMPUTE_PGM_RSRC2:USER_SGPR: 2
; COMPUTE_PGM_RSRC2:TRAP_HANDLER: 0
; COMPUTE_PGM_RSRC2:TGID_X_EN: 1
; COMPUTE_PGM_RSRC2:TGID_Y_EN: 1
; COMPUTE_PGM_RSRC2:TGID_Z_EN: 0
; COMPUTE_PGM_RSRC2:TIDIG_COMP_CNT: 1
	.section	.text._Z10vhgw_horizIL11MorphOpType1EEvPhPKhiii,"axG",@progbits,_Z10vhgw_horizIL11MorphOpType1EEvPhPKhiii,comdat
	.protected	_Z10vhgw_horizIL11MorphOpType1EEvPhPKhiii ; -- Begin function _Z10vhgw_horizIL11MorphOpType1EEvPhPKhiii
	.globl	_Z10vhgw_horizIL11MorphOpType1EEvPhPKhiii
	.p2align	8
	.type	_Z10vhgw_horizIL11MorphOpType1EEvPhPKhiii,@function
_Z10vhgw_horizIL11MorphOpType1EEvPhPKhiii: ; @_Z10vhgw_horizIL11MorphOpType1EEvPhPKhiii
; %bb.0:
	s_clause 0x1
	s_load_b32 s2, s[0:1], 0x2c
	s_load_b96 s[4:6], s[0:1], 0x10
	s_bfe_u32 s7, ttmp6, 0x4000c
	s_bfe_u32 s8, ttmp6, 0x40010
	s_add_co_i32 s7, s7, 1
	s_add_co_i32 s8, s8, 1
	s_and_b32 s3, ttmp6, 15
	s_bfe_u32 s9, ttmp6, 0x40004
	s_mul_i32 s7, ttmp9, s7
	s_mul_i32 s8, ttmp7, s8
	s_getreg_b32 s10, hwreg(HW_REG_IB_STS2, 6, 4)
	v_and_b32_e32 v2, 0x3ff, v0
	v_bfe_u32 v0, v0, 10, 10
	s_add_co_i32 s3, s3, s7
	s_add_co_i32 s9, s9, s8
	s_wait_kmcnt 0x0
	s_lshr_b32 s7, s2, 16
	s_and_b32 s2, s2, 0xffff
	s_cmp_eq_u32 s10, 0
	s_cselect_b32 s3, ttmp9, s3
	s_cselect_b32 s8, ttmp7, s9
	v_mad_u32 v3, s3, s2, v2
	v_mad_u32 v0, s8, s7, v0
	s_delay_alu instid0(VALU_DEP_2) | instskip(NEXT) | instid1(VALU_DEP_2)
	v_cmp_gt_i32_e32 vcc_lo, s4, v3
	v_cmp_gt_i32_e64 s2, s5, v0
	s_and_b32 s2, vcc_lo, s2
	s_delay_alu instid0(SALU_CYCLE_1)
	s_and_saveexec_b32 s3, s2
	s_cbranch_execz .LBB2_12
; %bb.1:
	s_load_b64 s[2:3], s[0:1], 0x8
	v_mad_u32 v0, v0, s4, v3
	v_dual_add_nc_u32 v4, s6, v3 :: v_dual_add_nc_u32 v5, 0, v2
	s_delay_alu instid0(VALU_DEP_1) | instskip(NEXT) | instid1(VALU_DEP_2)
	v_cmp_gt_i32_e32 vcc_lo, s4, v4
	v_add_nc_u32_e32 v4, s6, v5
	s_wait_kmcnt 0x0
	global_load_u8 v1, v0, s[2:3]
	s_wait_loadcnt 0x0
	ds_store_b8 v5, v1
	s_and_saveexec_b32 s5, vcc_lo
	s_cbranch_execz .LBB2_3
; %bb.2:
	v_ashrrev_i32_e32 v1, 31, v0
	s_delay_alu instid0(VALU_DEP_1)
	v_add_nc_u64_e32 v[6:7], s[2:3], v[0:1]
	s_ashr_i32 s3, s6, 31
	s_mov_b32 s2, s6
	s_delay_alu instid0(VALU_DEP_1) | instid1(SALU_CYCLE_1)
	v_add_nc_u64_e32 v[6:7], s[2:3], v[6:7]
	global_load_u8 v1, v[6:7], off
	s_wait_loadcnt 0x0
	ds_store_b8 v4, v1
.LBB2_3:
	s_or_b32 exec_lo, exec_lo, s5
	s_wait_dscnt 0x0
	s_barrier_signal -1
	s_barrier_wait -1
	ds_load_u8 v6, v5
	ds_load_u8 v7, v4
	s_lshl_b32 s2, s6, 1
	s_mov_b32 s3, 1
	s_add_co_i32 s2, s2, 0
	s_delay_alu instid0(SALU_CYCLE_1) | instskip(SKIP_1) | instid1(VALU_DEP_1)
	v_dual_add_nc_u32 v5, s6, v2 :: v_dual_add_nc_u32 v1, s2, v2
	s_cmp_lt_i32 s6, 2
	v_add_nc_u32_e32 v4, s2, v5
	s_wait_dscnt 0x1
	ds_store_b8 v1, v6
	s_wait_dscnt 0x1
	ds_store_b8 v4, v7
	s_wait_dscnt 0x0
	s_barrier_signal -1
	s_barrier_wait -1
	s_cbranch_scc1 .LBB2_10
; %bb.4:
	v_add_nc_u32_e32 v5, -1, v5
	s_delay_alu instid0(VALU_DEP_1)
	v_add_nc_u32_e32 v6, s2, v5
	s_branch .LBB2_6
.LBB2_5:                                ;   in Loop: Header=BB2_6 Depth=1
	s_or_b32 exec_lo, exec_lo, s5
	s_lshl_b32 s3, s3, 1
	s_wait_dscnt 0x0
	s_cmp_lt_i32 s3, s6
	s_barrier_signal -1
	s_barrier_wait -1
	s_cbranch_scc0 .LBB2_10
.LBB2_6:                                ; =>This Inner Loop Header: Depth=1
	s_mov_b32 s5, exec_lo
	v_cmpx_le_u32_e64 s3, v2
	s_cbranch_execz .LBB2_8
; %bb.7:                                ;   in Loop: Header=BB2_6 Depth=1
	v_subrev_nc_u32_e32 v7, s3, v5
	s_delay_alu instid0(VALU_DEP_1)
	v_add_nc_u32_e32 v7, s2, v7
	ds_load_u8 v8, v6
	ds_load_u8 v7, v7
	s_wait_dscnt 0x0
	v_max_u16 v7, v8, v7
	ds_store_b8 v6, v7
.LBB2_8:                                ;   in Loop: Header=BB2_6 Depth=1
	s_or_b32 exec_lo, exec_lo, s5
	s_not_b32 s5, s3
	s_delay_alu instid0(SALU_CYCLE_1) | instskip(NEXT) | instid1(SALU_CYCLE_1)
	s_add_co_i32 s5, s6, s5
	v_cmp_ge_i32_e32 vcc_lo, s5, v2
	s_and_saveexec_b32 s5, vcc_lo
	s_cbranch_execz .LBB2_5
; %bb.9:                                ;   in Loop: Header=BB2_6 Depth=1
	v_add_nc_u32_e32 v7, s3, v1
	ds_load_u8 v8, v1
	ds_load_u8 v7, v7
	s_wait_dscnt 0x0
	v_max_u16 v7, v8, v7
	ds_store_b8 v1, v7
	s_branch .LBB2_5
.LBB2_10:
	s_lshr_b32 s2, s6, 31
	s_delay_alu instid0(SALU_CYCLE_1) | instskip(NEXT) | instid1(SALU_CYCLE_1)
	s_add_co_i32 s2, s6, s2
	s_ashr_i32 s2, s2, 1
	s_delay_alu instid0(SALU_CYCLE_1)
	v_add_nc_u32_e32 v2, s2, v3
	s_sub_co_i32 s3, s4, s2
	s_delay_alu instid0(VALU_DEP_1) | instid1(SALU_CYCLE_1)
	v_cmp_gt_i32_e32 vcc_lo, s3, v2
	s_and_b32 exec_lo, exec_lo, vcc_lo
	s_cbranch_execz .LBB2_12
; %bb.11:
	v_add_nc_u32_e32 v2, -1, v4
	s_load_b64 s[0:1], s[0:1], 0x0
	v_add_nc_u32_e32 v0, s2, v0
	ds_load_u8 v1, v1
	ds_load_u8 v2, v2
	s_wait_dscnt 0x0
	v_max_u16 v1, v1, v2
	s_wait_kmcnt 0x0
	global_store_b8 v0, v1, s[0:1]
.LBB2_12:
	s_endpgm
	.section	.rodata,"a",@progbits
	.p2align	6, 0x0
	.amdhsa_kernel _Z10vhgw_horizIL11MorphOpType1EEvPhPKhiii
		.amdhsa_group_segment_fixed_size 0
		.amdhsa_private_segment_fixed_size 0
		.amdhsa_kernarg_size 288
		.amdhsa_user_sgpr_count 2
		.amdhsa_user_sgpr_dispatch_ptr 0
		.amdhsa_user_sgpr_queue_ptr 0
		.amdhsa_user_sgpr_kernarg_segment_ptr 1
		.amdhsa_user_sgpr_dispatch_id 0
		.amdhsa_user_sgpr_kernarg_preload_length 0
		.amdhsa_user_sgpr_kernarg_preload_offset 0
		.amdhsa_user_sgpr_private_segment_size 0
		.amdhsa_wavefront_size32 1
		.amdhsa_uses_dynamic_stack 0
		.amdhsa_enable_private_segment 0
		.amdhsa_system_sgpr_workgroup_id_x 1
		.amdhsa_system_sgpr_workgroup_id_y 1
		.amdhsa_system_sgpr_workgroup_id_z 0
		.amdhsa_system_sgpr_workgroup_info 0
		.amdhsa_system_vgpr_workitem_id 1
		.amdhsa_next_free_vgpr 9
		.amdhsa_next_free_sgpr 11
		.amdhsa_named_barrier_count 0
		.amdhsa_reserve_vcc 1
		.amdhsa_float_round_mode_32 0
		.amdhsa_float_round_mode_16_64 0
		.amdhsa_float_denorm_mode_32 3
		.amdhsa_float_denorm_mode_16_64 3
		.amdhsa_fp16_overflow 0
		.amdhsa_memory_ordered 1
		.amdhsa_forward_progress 1
		.amdhsa_inst_pref_size 6
		.amdhsa_round_robin_scheduling 0
		.amdhsa_exception_fp_ieee_invalid_op 0
		.amdhsa_exception_fp_denorm_src 0
		.amdhsa_exception_fp_ieee_div_zero 0
		.amdhsa_exception_fp_ieee_overflow 0
		.amdhsa_exception_fp_ieee_underflow 0
		.amdhsa_exception_fp_ieee_inexact 0
		.amdhsa_exception_int_div_zero 0
	.end_amdhsa_kernel
	.section	.text._Z10vhgw_horizIL11MorphOpType1EEvPhPKhiii,"axG",@progbits,_Z10vhgw_horizIL11MorphOpType1EEvPhPKhiii,comdat
.Lfunc_end2:
	.size	_Z10vhgw_horizIL11MorphOpType1EEvPhPKhiii, .Lfunc_end2-_Z10vhgw_horizIL11MorphOpType1EEvPhPKhiii
                                        ; -- End function
	.set _Z10vhgw_horizIL11MorphOpType1EEvPhPKhiii.num_vgpr, 9
	.set _Z10vhgw_horizIL11MorphOpType1EEvPhPKhiii.num_agpr, 0
	.set _Z10vhgw_horizIL11MorphOpType1EEvPhPKhiii.numbered_sgpr, 11
	.set _Z10vhgw_horizIL11MorphOpType1EEvPhPKhiii.num_named_barrier, 0
	.set _Z10vhgw_horizIL11MorphOpType1EEvPhPKhiii.private_seg_size, 0
	.set _Z10vhgw_horizIL11MorphOpType1EEvPhPKhiii.uses_vcc, 1
	.set _Z10vhgw_horizIL11MorphOpType1EEvPhPKhiii.uses_flat_scratch, 0
	.set _Z10vhgw_horizIL11MorphOpType1EEvPhPKhiii.has_dyn_sized_stack, 0
	.set _Z10vhgw_horizIL11MorphOpType1EEvPhPKhiii.has_recursion, 0
	.set _Z10vhgw_horizIL11MorphOpType1EEvPhPKhiii.has_indirect_call, 0
	.section	.AMDGPU.csdata,"",@progbits
; Kernel info:
; codeLenInByte = 692
; TotalNumSgprs: 13
; NumVgprs: 9
; ScratchSize: 0
; MemoryBound: 0
; FloatMode: 240
; IeeeMode: 1
; LDSByteSize: 0 bytes/workgroup (compile time only)
; SGPRBlocks: 0
; VGPRBlocks: 0
; NumSGPRsForWavesPerEU: 13
; NumVGPRsForWavesPerEU: 9
; NamedBarCnt: 0
; Occupancy: 16
; WaveLimiterHint : 0
; COMPUTE_PGM_RSRC2:SCRATCH_EN: 0
; COMPUTE_PGM_RSRC2:USER_SGPR: 2
; COMPUTE_PGM_RSRC2:TRAP_HANDLER: 0
; COMPUTE_PGM_RSRC2:TGID_X_EN: 1
; COMPUTE_PGM_RSRC2:TGID_Y_EN: 1
; COMPUTE_PGM_RSRC2:TGID_Z_EN: 0
; COMPUTE_PGM_RSRC2:TIDIG_COMP_CNT: 1
	.section	.text._Z9vhgw_vertIL11MorphOpType1EEvPhPKhiii,"axG",@progbits,_Z9vhgw_vertIL11MorphOpType1EEvPhPKhiii,comdat
	.protected	_Z9vhgw_vertIL11MorphOpType1EEvPhPKhiii ; -- Begin function _Z9vhgw_vertIL11MorphOpType1EEvPhPKhiii
	.globl	_Z9vhgw_vertIL11MorphOpType1EEvPhPKhiii
	.p2align	8
	.type	_Z9vhgw_vertIL11MorphOpType1EEvPhPKhiii,@function
_Z9vhgw_vertIL11MorphOpType1EEvPhPKhiii: ; @_Z9vhgw_vertIL11MorphOpType1EEvPhPKhiii
; %bb.0:
	s_clause 0x1
	s_load_b32 s2, s[0:1], 0x2c
	s_load_b96 s[4:6], s[0:1], 0x10
	s_bfe_u32 s7, ttmp6, 0x4000c
	s_bfe_u32 s8, ttmp6, 0x40010
	s_add_co_i32 s7, s7, 1
	s_add_co_i32 s8, s8, 1
	s_and_b32 s3, ttmp6, 15
	s_bfe_u32 s9, ttmp6, 0x40004
	s_mul_i32 s7, ttmp9, s7
	s_mul_i32 s8, ttmp7, s8
	s_getreg_b32 s10, hwreg(HW_REG_IB_STS2, 6, 4)
	v_and_b32_e32 v2, 0x3ff, v0
	v_bfe_u32 v3, v0, 10, 10
	s_add_co_i32 s3, s3, s7
	s_add_co_i32 s9, s9, s8
	s_wait_kmcnt 0x0
	s_lshr_b32 s7, s2, 16
	s_and_b32 s2, s2, 0xffff
	s_cmp_eq_u32 s10, 0
	s_cselect_b32 s8, ttmp7, s9
	s_cselect_b32 s3, ttmp9, s3
	v_mad_u32 v1, s8, s7, v3
	v_mad_u32 v2, s3, s2, v2
	s_delay_alu instid0(VALU_DEP_2) | instskip(NEXT) | instid1(VALU_DEP_2)
	v_cmp_gt_i32_e32 vcc_lo, s5, v1
	v_cmp_gt_i32_e64 s2, s4, v2
	s_and_b32 s2, s2, vcc_lo
	s_delay_alu instid0(SALU_CYCLE_1)
	s_and_saveexec_b32 s3, s2
	s_cbranch_execz .LBB3_14
; %bb.1:
	s_load_b64 s[2:3], s[0:1], 0x8
	v_mad_u32 v0, v1, s4, v2
	v_dual_add_nc_u32 v6, s6, v1 :: v_dual_add_nc_u32 v5, 0, v3
	s_mov_b32 s7, exec_lo
	s_delay_alu instid0(VALU_DEP_1)
	v_add_nc_u32_e32 v4, s6, v5
	s_wait_kmcnt 0x0
	global_load_u8 v7, v0, s[2:3]
	s_wait_loadcnt 0x0
	ds_store_b8 v5, v7
	v_cmpx_gt_i32_e64 s5, v6
	s_cbranch_execz .LBB3_3
; %bb.2:
	v_mad_u32 v6, v6, s4, v2
	global_load_u8 v6, v6, s[2:3]
	s_wait_loadcnt 0x0
	ds_store_b8 v4, v6
.LBB3_3:
	s_or_b32 exec_lo, exec_lo, s7
	s_wait_dscnt 0x0
	s_barrier_signal -1
	s_barrier_wait -1
	ds_load_u8 v7, v5
	ds_load_u8 v8, v4
	s_lshl_b32 s2, s6, 1
	s_mov_b32 s3, 1
	s_add_co_i32 s2, s2, 0
	s_delay_alu instid0(SALU_CYCLE_1) | instskip(SKIP_1) | instid1(VALU_DEP_1)
	v_dual_add_nc_u32 v6, s6, v3 :: v_dual_add_nc_u32 v4, s2, v3
	s_cmp_lt_i32 s6, 2
	v_add_nc_u32_e32 v5, s2, v6
	s_wait_dscnt 0x1
	ds_store_b8 v4, v7
	s_wait_dscnt 0x1
	ds_store_b8 v5, v8
	s_wait_dscnt 0x0
	s_barrier_signal -1
	s_barrier_wait -1
	s_cbranch_scc1 .LBB3_10
; %bb.4:
	v_add_nc_u32_e32 v6, -1, v6
	s_delay_alu instid0(VALU_DEP_1)
	v_add_nc_u32_e32 v7, s2, v6
	s_branch .LBB3_6
.LBB3_5:                                ;   in Loop: Header=BB3_6 Depth=1
	s_or_b32 exec_lo, exec_lo, s7
	s_lshl_b32 s3, s3, 1
	s_wait_dscnt 0x0
	s_cmp_lt_i32 s3, s6
	s_barrier_signal -1
	s_barrier_wait -1
	s_cbranch_scc0 .LBB3_10
.LBB3_6:                                ; =>This Inner Loop Header: Depth=1
	s_mov_b32 s7, exec_lo
	v_cmpx_le_u32_e64 s3, v3
	s_cbranch_execz .LBB3_8
; %bb.7:                                ;   in Loop: Header=BB3_6 Depth=1
	v_subrev_nc_u32_e32 v8, s3, v6
	s_delay_alu instid0(VALU_DEP_1)
	v_add_nc_u32_e32 v8, s2, v8
	ds_load_u8 v9, v7
	ds_load_u8 v8, v8
	s_wait_dscnt 0x0
	v_max_u16 v8, v9, v8
	ds_store_b8 v7, v8
.LBB3_8:                                ;   in Loop: Header=BB3_6 Depth=1
	s_or_b32 exec_lo, exec_lo, s7
	s_not_b32 s7, s3
	s_delay_alu instid0(SALU_CYCLE_1) | instskip(NEXT) | instid1(SALU_CYCLE_1)
	s_add_co_i32 s7, s6, s7
	v_cmp_ge_i32_e32 vcc_lo, s7, v3
	s_and_saveexec_b32 s7, vcc_lo
	s_cbranch_execz .LBB3_5
; %bb.9:                                ;   in Loop: Header=BB3_6 Depth=1
	v_add_nc_u32_e32 v8, s3, v4
	ds_load_u8 v9, v4
	ds_load_u8 v8, v8
	s_wait_dscnt 0x0
	v_max_u16 v8, v9, v8
	ds_store_b8 v4, v8
	s_branch .LBB3_5
.LBB3_10:
	s_load_b64 s[2:3], s[0:1], 0x0
	s_wait_xcnt 0x0
	s_lshr_b32 s0, s6, 31
	s_delay_alu instid0(SALU_CYCLE_1) | instskip(NEXT) | instid1(SALU_CYCLE_1)
	s_add_co_i32 s0, s6, s0
	s_ashr_i32 s0, s0, 1
	s_delay_alu instid0(SALU_CYCLE_1) | instskip(SKIP_2) | instid1(VALU_DEP_1)
	v_add_nc_u32_e32 v3, s0, v1
	s_sub_co_i32 s1, s5, s0
	s_mov_b32 s5, exec_lo
	v_cmpx_gt_i32_e64 s1, v3
	s_cbranch_execz .LBB3_12
; %bb.11:
	v_add_nc_u32_e32 v5, -1, v5
	v_mad_u32 v2, v3, s4, v2
	ds_load_u8 v4, v4
	ds_load_u8 v5, v5
	s_wait_dscnt 0x0
	v_max_u16 v3, v4, v5
	s_wait_kmcnt 0x0
	global_store_b8 v2, v3, s[2:3]
.LBB3_12:
	s_wait_xcnt 0x0
	s_or_b32 exec_lo, exec_lo, s5
	v_cmp_gt_i32_e32 vcc_lo, s0, v1
	v_cmp_le_i32_e64 s0, s1, v1
	s_or_b32 s0, vcc_lo, s0
	s_delay_alu instid0(SALU_CYCLE_1)
	s_and_b32 exec_lo, exec_lo, s0
	s_cbranch_execz .LBB3_14
; %bb.13:
	v_dual_mov_b32 v2, 0xff :: v_dual_ashrrev_i32 v1, 31, v0
	s_wait_kmcnt 0x0
	s_delay_alu instid0(VALU_DEP_1)
	v_add_nc_u64_e32 v[0:1], s[2:3], v[0:1]
	global_store_b8 v[0:1], v2, off
.LBB3_14:
	s_endpgm
	.section	.rodata,"a",@progbits
	.p2align	6, 0x0
	.amdhsa_kernel _Z9vhgw_vertIL11MorphOpType1EEvPhPKhiii
		.amdhsa_group_segment_fixed_size 0
		.amdhsa_private_segment_fixed_size 0
		.amdhsa_kernarg_size 288
		.amdhsa_user_sgpr_count 2
		.amdhsa_user_sgpr_dispatch_ptr 0
		.amdhsa_user_sgpr_queue_ptr 0
		.amdhsa_user_sgpr_kernarg_segment_ptr 1
		.amdhsa_user_sgpr_dispatch_id 0
		.amdhsa_user_sgpr_kernarg_preload_length 0
		.amdhsa_user_sgpr_kernarg_preload_offset 0
		.amdhsa_user_sgpr_private_segment_size 0
		.amdhsa_wavefront_size32 1
		.amdhsa_uses_dynamic_stack 0
		.amdhsa_enable_private_segment 0
		.amdhsa_system_sgpr_workgroup_id_x 1
		.amdhsa_system_sgpr_workgroup_id_y 1
		.amdhsa_system_sgpr_workgroup_id_z 0
		.amdhsa_system_sgpr_workgroup_info 0
		.amdhsa_system_vgpr_workitem_id 1
		.amdhsa_next_free_vgpr 10
		.amdhsa_next_free_sgpr 11
		.amdhsa_named_barrier_count 0
		.amdhsa_reserve_vcc 1
		.amdhsa_float_round_mode_32 0
		.amdhsa_float_round_mode_16_64 0
		.amdhsa_float_denorm_mode_32 3
		.amdhsa_float_denorm_mode_16_64 3
		.amdhsa_fp16_overflow 0
		.amdhsa_memory_ordered 1
		.amdhsa_forward_progress 1
		.amdhsa_inst_pref_size 6
		.amdhsa_round_robin_scheduling 0
		.amdhsa_exception_fp_ieee_invalid_op 0
		.amdhsa_exception_fp_denorm_src 0
		.amdhsa_exception_fp_ieee_div_zero 0
		.amdhsa_exception_fp_ieee_overflow 0
		.amdhsa_exception_fp_ieee_underflow 0
		.amdhsa_exception_fp_ieee_inexact 0
		.amdhsa_exception_int_div_zero 0
	.end_amdhsa_kernel
	.section	.text._Z9vhgw_vertIL11MorphOpType1EEvPhPKhiii,"axG",@progbits,_Z9vhgw_vertIL11MorphOpType1EEvPhPKhiii,comdat
.Lfunc_end3:
	.size	_Z9vhgw_vertIL11MorphOpType1EEvPhPKhiii, .Lfunc_end3-_Z9vhgw_vertIL11MorphOpType1EEvPhPKhiii
                                        ; -- End function
	.set _Z9vhgw_vertIL11MorphOpType1EEvPhPKhiii.num_vgpr, 10
	.set _Z9vhgw_vertIL11MorphOpType1EEvPhPKhiii.num_agpr, 0
	.set _Z9vhgw_vertIL11MorphOpType1EEvPhPKhiii.numbered_sgpr, 11
	.set _Z9vhgw_vertIL11MorphOpType1EEvPhPKhiii.num_named_barrier, 0
	.set _Z9vhgw_vertIL11MorphOpType1EEvPhPKhiii.private_seg_size, 0
	.set _Z9vhgw_vertIL11MorphOpType1EEvPhPKhiii.uses_vcc, 1
	.set _Z9vhgw_vertIL11MorphOpType1EEvPhPKhiii.uses_flat_scratch, 0
	.set _Z9vhgw_vertIL11MorphOpType1EEvPhPKhiii.has_dyn_sized_stack, 0
	.set _Z9vhgw_vertIL11MorphOpType1EEvPhPKhiii.has_recursion, 0
	.set _Z9vhgw_vertIL11MorphOpType1EEvPhPKhiii.has_indirect_call, 0
	.section	.AMDGPU.csdata,"",@progbits
; Kernel info:
; codeLenInByte = 756
; TotalNumSgprs: 13
; NumVgprs: 10
; ScratchSize: 0
; MemoryBound: 0
; FloatMode: 240
; IeeeMode: 1
; LDSByteSize: 0 bytes/workgroup (compile time only)
; SGPRBlocks: 0
; VGPRBlocks: 0
; NumSGPRsForWavesPerEU: 13
; NumVGPRsForWavesPerEU: 10
; NamedBarCnt: 0
; Occupancy: 16
; WaveLimiterHint : 0
; COMPUTE_PGM_RSRC2:SCRATCH_EN: 0
; COMPUTE_PGM_RSRC2:USER_SGPR: 2
; COMPUTE_PGM_RSRC2:TRAP_HANDLER: 0
; COMPUTE_PGM_RSRC2:TGID_X_EN: 1
; COMPUTE_PGM_RSRC2:TGID_Y_EN: 1
; COMPUTE_PGM_RSRC2:TGID_Z_EN: 0
; COMPUTE_PGM_RSRC2:TIDIG_COMP_CNT: 1
	.section	.AMDGPU.gpr_maximums,"",@progbits
	.set amdgpu.max_num_vgpr, 0
	.set amdgpu.max_num_agpr, 0
	.set amdgpu.max_num_sgpr, 0
	.section	.AMDGPU.csdata,"",@progbits
	.type	__hip_cuid_bcbf020bb37fd8b5,@object ; @__hip_cuid_bcbf020bb37fd8b5
	.section	.bss,"aw",@nobits
	.globl	__hip_cuid_bcbf020bb37fd8b5
__hip_cuid_bcbf020bb37fd8b5:
	.byte	0                               ; 0x0
	.size	__hip_cuid_bcbf020bb37fd8b5, 1

	.ident	"AMD clang version 22.0.0git (https://github.com/RadeonOpenCompute/llvm-project roc-7.2.4 26084 f58b06dce1f9c15707c5f808fd002e18c2accf7e)"
	.section	".note.GNU-stack","",@progbits
	.addrsig
	.addrsig_sym __hip_cuid_bcbf020bb37fd8b5
	.amdgpu_metadata
---
amdhsa.kernels:
  - .args:
      - .actual_access:  write_only
        .address_space:  global
        .offset:         0
        .size:           8
        .value_kind:     global_buffer
      - .actual_access:  read_only
        .address_space:  global
        .offset:         8
        .size:           8
        .value_kind:     global_buffer
      - .offset:         16
        .size:           4
        .value_kind:     by_value
      - .offset:         20
        .size:           4
        .value_kind:     by_value
      - .offset:         24
        .size:           4
        .value_kind:     by_value
      - .offset:         32
        .size:           4
        .value_kind:     hidden_block_count_x
      - .offset:         36
        .size:           4
        .value_kind:     hidden_block_count_y
      - .offset:         40
        .size:           4
        .value_kind:     hidden_block_count_z
      - .offset:         44
        .size:           2
        .value_kind:     hidden_group_size_x
      - .offset:         46
        .size:           2
        .value_kind:     hidden_group_size_y
      - .offset:         48
        .size:           2
        .value_kind:     hidden_group_size_z
      - .offset:         50
        .size:           2
        .value_kind:     hidden_remainder_x
      - .offset:         52
        .size:           2
        .value_kind:     hidden_remainder_y
      - .offset:         54
        .size:           2
        .value_kind:     hidden_remainder_z
      - .offset:         72
        .size:           8
        .value_kind:     hidden_global_offset_x
      - .offset:         80
        .size:           8
        .value_kind:     hidden_global_offset_y
      - .offset:         88
        .size:           8
        .value_kind:     hidden_global_offset_z
      - .offset:         96
        .size:           2
        .value_kind:     hidden_grid_dims
      - .offset:         152
        .size:           4
        .value_kind:     hidden_dynamic_lds_size
    .group_segment_fixed_size: 0
    .kernarg_segment_align: 8
    .kernarg_segment_size: 288
    .language:       OpenCL C
    .language_version:
      - 2
      - 0
    .max_flat_workgroup_size: 1024
    .name:           _Z10vhgw_horizIL11MorphOpType0EEvPhPKhiii
    .private_segment_fixed_size: 0
    .sgpr_count:     13
    .sgpr_spill_count: 0
    .symbol:         _Z10vhgw_horizIL11MorphOpType0EEvPhPKhiii.kd
    .uniform_work_group_size: 1
    .uses_dynamic_stack: false
    .vgpr_count:     9
    .vgpr_spill_count: 0
    .wavefront_size: 32
  - .args:
      - .actual_access:  write_only
        .address_space:  global
        .offset:         0
        .size:           8
        .value_kind:     global_buffer
      - .actual_access:  read_only
        .address_space:  global
        .offset:         8
        .size:           8
        .value_kind:     global_buffer
      - .offset:         16
        .size:           4
        .value_kind:     by_value
      - .offset:         20
        .size:           4
        .value_kind:     by_value
      - .offset:         24
        .size:           4
        .value_kind:     by_value
      - .offset:         32
        .size:           4
        .value_kind:     hidden_block_count_x
      - .offset:         36
        .size:           4
        .value_kind:     hidden_block_count_y
      - .offset:         40
        .size:           4
        .value_kind:     hidden_block_count_z
      - .offset:         44
        .size:           2
        .value_kind:     hidden_group_size_x
      - .offset:         46
        .size:           2
        .value_kind:     hidden_group_size_y
      - .offset:         48
        .size:           2
        .value_kind:     hidden_group_size_z
      - .offset:         50
        .size:           2
        .value_kind:     hidden_remainder_x
      - .offset:         52
        .size:           2
        .value_kind:     hidden_remainder_y
      - .offset:         54
        .size:           2
        .value_kind:     hidden_remainder_z
      - .offset:         72
        .size:           8
        .value_kind:     hidden_global_offset_x
      - .offset:         80
        .size:           8
        .value_kind:     hidden_global_offset_y
      - .offset:         88
        .size:           8
        .value_kind:     hidden_global_offset_z
      - .offset:         96
        .size:           2
        .value_kind:     hidden_grid_dims
      - .offset:         152
        .size:           4
        .value_kind:     hidden_dynamic_lds_size
    .group_segment_fixed_size: 0
    .kernarg_segment_align: 8
    .kernarg_segment_size: 288
    .language:       OpenCL C
    .language_version:
      - 2
      - 0
    .max_flat_workgroup_size: 1024
    .name:           _Z9vhgw_vertIL11MorphOpType0EEvPhPKhiii
    .private_segment_fixed_size: 0
    .sgpr_count:     13
    .sgpr_spill_count: 0
    .symbol:         _Z9vhgw_vertIL11MorphOpType0EEvPhPKhiii.kd
    .uniform_work_group_size: 1
    .uses_dynamic_stack: false
    .vgpr_count:     10
    .vgpr_spill_count: 0
    .wavefront_size: 32
  - .args:
      - .actual_access:  write_only
        .address_space:  global
        .offset:         0
        .size:           8
        .value_kind:     global_buffer
      - .actual_access:  read_only
        .address_space:  global
        .offset:         8
        .size:           8
        .value_kind:     global_buffer
      - .offset:         16
        .size:           4
        .value_kind:     by_value
      - .offset:         20
        .size:           4
        .value_kind:     by_value
      - .offset:         24
        .size:           4
        .value_kind:     by_value
      - .offset:         32
        .size:           4
        .value_kind:     hidden_block_count_x
      - .offset:         36
        .size:           4
        .value_kind:     hidden_block_count_y
      - .offset:         40
        .size:           4
        .value_kind:     hidden_block_count_z
      - .offset:         44
        .size:           2
        .value_kind:     hidden_group_size_x
      - .offset:         46
        .size:           2
        .value_kind:     hidden_group_size_y
      - .offset:         48
        .size:           2
        .value_kind:     hidden_group_size_z
      - .offset:         50
        .size:           2
        .value_kind:     hidden_remainder_x
      - .offset:         52
        .size:           2
        .value_kind:     hidden_remainder_y
      - .offset:         54
        .size:           2
        .value_kind:     hidden_remainder_z
      - .offset:         72
        .size:           8
        .value_kind:     hidden_global_offset_x
      - .offset:         80
        .size:           8
        .value_kind:     hidden_global_offset_y
      - .offset:         88
        .size:           8
        .value_kind:     hidden_global_offset_z
      - .offset:         96
        .size:           2
        .value_kind:     hidden_grid_dims
      - .offset:         152
        .size:           4
        .value_kind:     hidden_dynamic_lds_size
    .group_segment_fixed_size: 0
    .kernarg_segment_align: 8
    .kernarg_segment_size: 288
    .language:       OpenCL C
    .language_version:
      - 2
      - 0
    .max_flat_workgroup_size: 1024
    .name:           _Z10vhgw_horizIL11MorphOpType1EEvPhPKhiii
    .private_segment_fixed_size: 0
    .sgpr_count:     13
    .sgpr_spill_count: 0
    .symbol:         _Z10vhgw_horizIL11MorphOpType1EEvPhPKhiii.kd
    .uniform_work_group_size: 1
    .uses_dynamic_stack: false
    .vgpr_count:     9
    .vgpr_spill_count: 0
    .wavefront_size: 32
  - .args:
      - .actual_access:  write_only
        .address_space:  global
        .offset:         0
        .size:           8
        .value_kind:     global_buffer
      - .actual_access:  read_only
        .address_space:  global
        .offset:         8
        .size:           8
        .value_kind:     global_buffer
      - .offset:         16
        .size:           4
        .value_kind:     by_value
      - .offset:         20
        .size:           4
        .value_kind:     by_value
      - .offset:         24
        .size:           4
        .value_kind:     by_value
      - .offset:         32
        .size:           4
        .value_kind:     hidden_block_count_x
      - .offset:         36
        .size:           4
        .value_kind:     hidden_block_count_y
      - .offset:         40
        .size:           4
        .value_kind:     hidden_block_count_z
      - .offset:         44
        .size:           2
        .value_kind:     hidden_group_size_x
      - .offset:         46
        .size:           2
        .value_kind:     hidden_group_size_y
      - .offset:         48
        .size:           2
        .value_kind:     hidden_group_size_z
      - .offset:         50
        .size:           2
        .value_kind:     hidden_remainder_x
      - .offset:         52
        .size:           2
        .value_kind:     hidden_remainder_y
      - .offset:         54
        .size:           2
        .value_kind:     hidden_remainder_z
      - .offset:         72
        .size:           8
        .value_kind:     hidden_global_offset_x
      - .offset:         80
        .size:           8
        .value_kind:     hidden_global_offset_y
      - .offset:         88
        .size:           8
        .value_kind:     hidden_global_offset_z
      - .offset:         96
        .size:           2
        .value_kind:     hidden_grid_dims
      - .offset:         152
        .size:           4
        .value_kind:     hidden_dynamic_lds_size
    .group_segment_fixed_size: 0
    .kernarg_segment_align: 8
    .kernarg_segment_size: 288
    .language:       OpenCL C
    .language_version:
      - 2
      - 0
    .max_flat_workgroup_size: 1024
    .name:           _Z9vhgw_vertIL11MorphOpType1EEvPhPKhiii
    .private_segment_fixed_size: 0
    .sgpr_count:     13
    .sgpr_spill_count: 0
    .symbol:         _Z9vhgw_vertIL11MorphOpType1EEvPhPKhiii.kd
    .uniform_work_group_size: 1
    .uses_dynamic_stack: false
    .vgpr_count:     10
    .vgpr_spill_count: 0
    .wavefront_size: 32
amdhsa.target:   amdgcn-amd-amdhsa--gfx1250
amdhsa.version:
  - 1
  - 2
...

	.end_amdgpu_metadata
